;; amdgpu-corpus repo=ROCm/rocFFT kind=compiled arch=gfx950 opt=O3
	.text
	.amdgcn_target "amdgcn-amd-amdhsa--gfx950"
	.amdhsa_code_object_version 6
	.protected	fft_rtc_back_len169_factors_13_13_wgs_156_tpt_13_sp_op_CI_CI_sbrc_erc_z_xy_aligned_dirReg ; -- Begin function fft_rtc_back_len169_factors_13_13_wgs_156_tpt_13_sp_op_CI_CI_sbrc_erc_z_xy_aligned_dirReg
	.globl	fft_rtc_back_len169_factors_13_13_wgs_156_tpt_13_sp_op_CI_CI_sbrc_erc_z_xy_aligned_dirReg
	.p2align	8
	.type	fft_rtc_back_len169_factors_13_13_wgs_156_tpt_13_sp_op_CI_CI_sbrc_erc_z_xy_aligned_dirReg,@function
fft_rtc_back_len169_factors_13_13_wgs_156_tpt_13_sp_op_CI_CI_sbrc_erc_z_xy_aligned_dirReg: ; @fft_rtc_back_len169_factors_13_13_wgs_156_tpt_13_sp_op_CI_CI_sbrc_erc_z_xy_aligned_dirReg
; %bb.0:
	s_load_dwordx8 s[4:11], s[0:1], 0x0
	s_mov_b32 s42, 0xbeedf032
	s_mov_b32 s24, 0xbf52af12
	;; [unrolled: 1-line block ×4, first 2 shown]
	s_waitcnt lgkmcnt(0)
	s_load_dwordx4 s[12:15], s[8:9], 0x8
	s_load_dwordx4 s[20:23], s[10:11], 0x0
	s_waitcnt lgkmcnt(0)
	s_load_dword s13, s[10:11], 0x10
	s_mov_b32 s26, 0xbf788fa5
	s_mov_b32 s38, 0x3f29c268
	s_add_i32 s3, s12, -1
	s_mul_hi_u32 s3, s3, 0xaaaaaaab
	s_lshr_b32 s3, s3, 3
	s_add_i32 s12, s3, 1
	s_mul_i32 s8, s12, s14
	v_cvt_f32_u32_e32 v2, s8
	v_cvt_f32_u32_e32 v1, s12
	s_sub_i32 s9, 0, s8
	s_mov_b32 s30, 0x3f7e222b
	v_rcp_iflag_f32_e32 v2, v2
	v_rcp_iflag_f32_e32 v1, v1
	s_mov_b32 s36, 0x3eedf032
	s_mov_b32 s46, 0x3f6f5d39
	v_mul_f32_e32 v2, 0x4f7ffffe, v2
	v_cvt_u32_f32_e32 v2, v2
	v_mul_f32_e32 v1, 0x4f7ffffe, v1
	v_cvt_u32_f32_e32 v1, v1
	s_mov_b32 s44, 0x3e750f2a
	v_readfirstlane_b32 s15, v2
	s_mul_i32 s9, s9, s15
	s_mul_hi_u32 s9, s15, s9
	s_add_i32 s15, s15, s9
	s_mul_hi_u32 s9, s2, s15
	s_mul_i32 s15, s9, s8
	s_sub_i32 s15, s2, s15
	s_add_i32 s16, s9, 1
	s_sub_i32 s17, s15, s8
	s_cmp_ge_u32 s15, s8
	s_cselect_b32 s9, s16, s9
	s_cselect_b32 s15, s17, s15
	s_add_i32 s16, s9, 1
	s_cmp_ge_u32 s15, s8
	v_readfirstlane_b32 s14, v1
	s_cselect_b32 s23, s16, s9
	s_not_b32 s3, s3
	s_mul_i32 s3, s3, s14
	s_mul_i32 s8, s23, s8
	s_mul_hi_u32 s3, s14, s3
	s_sub_i32 s8, s2, s8
	s_add_i32 s14, s14, s3
	s_mul_hi_u32 s3, s8, s14
	s_mul_i32 s9, s3, s12
	s_sub_i32 s8, s8, s9
	s_add_i32 s15, s3, 1
	s_sub_i32 s9, s8, s12
	s_cmp_ge_u32 s8, s12
	s_cselect_b32 s3, s15, s3
	s_cselect_b32 s8, s9, s8
	s_add_i32 s9, s3, 1
	s_cmp_ge_u32 s8, s12
	s_cselect_b32 s25, s9, s3
	s_mul_hi_u32 s3, s2, s14
	s_mul_i32 s3, s3, s12
	s_sub_i32 s2, s2, s3
	s_sub_i32 s3, s2, s12
	s_cmp_ge_u32 s2, s12
	s_load_dwordx2 s[8:9], s[0:1], 0x20
	s_cselect_b32 s2, s3, s2
	s_sub_i32 s3, s2, s12
	s_cmp_ge_u32 s2, s12
	s_cselect_b32 s2, s3, s2
	s_waitcnt lgkmcnt(0)
	s_mul_i32 s3, s25, s13
	s_load_dwordx4 s[12:15], s[0:1], 0x58
	s_load_dwordx4 s[16:19], s[8:9], 0x0
	s_waitcnt lgkmcnt(0)
	s_mul_i32 s19, s2, 12
	s_mul_i32 s0, s19, s22
	s_add_i32 s0, s0, s3
	s_lshl_b64 s[6:7], s[6:7], 3
	s_mul_i32 s1, s17, s19
	s_mul_hi_u32 s2, s16, s19
	s_add_i32 s3, s2, s1
	s_add_u32 s10, s10, s6
	s_addc_u32 s11, s11, s7
	s_load_dwordx2 s[10:11], s[10:11], 0x0
	v_mul_u32_u24_e32 v1, 0x184, v0
	s_load_dword s27, s[8:9], 0x10
	v_lshrrev_b32_e32 v1, 16, v1
	v_mul_lo_u16_e32 v2, 0xa9, v1
	s_waitcnt lgkmcnt(0)
	s_mul_i32 s1, s11, s23
	s_mul_hi_u32 s2, s10, s23
	s_add_i32 s11, s2, s1
	s_add_u32 s6, s8, s6
	s_addc_u32 s7, s9, s7
	s_load_dwordx2 s[6:7], s[6:7], 0x0
	v_sub_u16_e32 v36, v0, v2
	v_mad_u64_u32 v[4:5], s[8:9], s20, v36, 0
	v_mov_b32_e32 v2, v5
	s_mul_i32 s10, s10, s23
	s_waitcnt lgkmcnt(0)
	s_mul_i32 s2, s7, s23
	s_mul_hi_u32 s7, s6, s23
	v_mad_u64_u32 v[2:3], s[8:9], s21, v36, v[2:3]
	s_add_i32 s7, s7, s2
	s_lshl_b64 s[8:9], s[10:11], 3
	s_mov_b32 s1, 0
	s_add_u32 s2, s12, s8
	s_addc_u32 s10, s13, s9
	s_lshl_b64 s[8:9], s[0:1], 3
	s_add_u32 s8, s2, s8
	v_mov_b32_e32 v5, v2
	s_addc_u32 s9, s10, s9
	v_mul_lo_u32 v2, s22, v1
	v_mov_b32_e32 v3, 0
	v_lshl_add_u64 v[4:5], v[4:5], 3, s[8:9]
	v_lshl_add_u64 v[4:5], v[2:3], 3, v[4:5]
	v_add_u16_e32 v2, 0x9c, v0
	v_mul_u32_u24_e32 v6, 0x184, v2
	v_lshrrev_b32_e32 v37, 16, v6
	v_mul_lo_u16_e32 v6, 0xa9, v37
	v_sub_u16_e32 v38, v2, v6
	v_mad_u64_u32 v[6:7], s[10:11], s20, v38, 0
	v_mov_b32_e32 v2, v7
	v_mad_u64_u32 v[8:9], s[10:11], s21, v38, v[2:3]
	v_mov_b32_e32 v7, v8
	s_mov_b32 s0, 0x1d40138
	v_mul_lo_u32 v2, s22, v37
	v_lshl_add_u64 v[6:7], v[6:7], 3, s[8:9]
	v_pk_add_u16 v12, v0, s0 op_sel_hi:[0,1]
	v_lshl_add_u64 v[6:7], v[2:3], 3, v[6:7]
	v_and_b32_e32 v2, 0x3ff, v12
	v_mul_u32_u24_e32 v2, 0xc1f, v2
	v_lshrrev_b32_e32 v39, 19, v2
	v_mul_lo_u16_e32 v2, 0xa9, v39
	v_sub_u16_e32 v40, v12, v2
	v_mad_u64_u32 v[8:9], s[10:11], s20, v40, 0
	v_mov_b32_e32 v2, v9
	s_movk_i32 s0, 0xc1f
	v_mad_u64_u32 v[10:11], s[10:11], s21, v40, v[2:3]
	v_mov_b32_e32 v9, v10
	v_mul_u32_u24_sdwa v2, v12, s0 dst_sel:DWORD dst_unused:UNUSED_PAD src0_sel:WORD_1 src1_sel:DWORD
	v_lshrrev_b32_e32 v41, 19, v2
	v_mul_lo_u32 v2, s22, v39
	v_lshl_add_u64 v[8:9], v[8:9], 3, s[8:9]
	v_lshl_add_u64 v[8:9], v[2:3], 3, v[8:9]
	v_mul_lo_u16_e32 v2, 0xa9, v41
	v_sub_u16_sdwa v42, v12, v2 dst_sel:DWORD dst_unused:UNUSED_PAD src0_sel:WORD_1 src1_sel:DWORD
	v_mad_u64_u32 v[10:11], s[10:11], s20, v42, 0
	v_mov_b32_e32 v2, v11
	v_mad_u64_u32 v[12:13], s[10:11], s21, v42, v[2:3]
	v_mov_b32_e32 v11, v12
	v_mul_lo_u32 v2, s22, v41
	v_lshl_add_u64 v[10:11], v[10:11], 3, s[8:9]
	s_mov_b32 s2, 0x30c0270
	v_lshl_add_u64 v[10:11], v[2:3], 3, v[10:11]
	global_load_dwordx2 v[12:13], v[4:5], off
	global_load_dwordx2 v[14:15], v[6:7], off
	;; [unrolled: 1-line block ×4, first 2 shown]
	v_pk_add_u16 v8, v0, s2 op_sel_hi:[0,1]
	v_and_b32_e32 v2, 0x3ff, v8
	v_mul_u32_u24_e32 v2, 0xc1f, v2
	v_lshrrev_b32_e32 v43, 19, v2
	v_mul_lo_u16_e32 v2, 0xa9, v43
	v_sub_u16_e32 v44, v8, v2
	v_mad_u64_u32 v[4:5], s[10:11], s20, v44, 0
	v_mov_b32_e32 v2, v5
	v_mad_u64_u32 v[6:7], s[10:11], s21, v44, v[2:3]
	v_mov_b32_e32 v5, v6
	v_mul_u32_u24_sdwa v2, v8, s0 dst_sel:DWORD dst_unused:UNUSED_PAD src0_sel:WORD_1 src1_sel:DWORD
	v_lshrrev_b32_e32 v45, 19, v2
	v_mul_lo_u32 v2, s22, v43
	v_lshl_add_u64 v[4:5], v[4:5], 3, s[8:9]
	v_lshl_add_u64 v[4:5], v[2:3], 3, v[4:5]
	v_mul_lo_u16_e32 v2, 0xa9, v45
	v_sub_u16_sdwa v46, v8, v2 dst_sel:DWORD dst_unused:UNUSED_PAD src0_sel:WORD_1 src1_sel:DWORD
	v_mad_u64_u32 v[6:7], s[10:11], s20, v46, 0
	v_mov_b32_e32 v2, v7
	v_mad_u64_u32 v[8:9], s[10:11], s21, v46, v[2:3]
	v_mov_b32_e32 v7, v8
	v_mul_lo_u32 v2, s22, v45
	v_lshl_add_u64 v[6:7], v[6:7], 3, s[8:9]
	v_lshl_add_u64 v[6:7], v[2:3], 3, v[6:7]
	v_add_u16_e32 v2, 0x3a8, v0
	v_mul_u32_u24_e32 v8, 0xc1f, v2
	v_lshrrev_b32_e32 v47, 19, v8
	v_mul_lo_u16_e32 v8, 0xa9, v47
	v_sub_u16_e32 v48, v2, v8
	v_mad_u64_u32 v[8:9], s[10:11], s20, v48, 0
	v_mov_b32_e32 v2, v9
	v_mad_u64_u32 v[10:11], s[10:11], s21, v48, v[2:3]
	v_mov_b32_e32 v9, v10
	v_mul_lo_u32 v2, s22, v47
	v_lshl_add_u64 v[8:9], v[8:9], 3, s[8:9]
	v_lshl_add_u64 v[8:9], v[2:3], 3, v[8:9]
	v_add_u16_e32 v2, 0x444, v0
	v_mul_u32_u24_e32 v10, 0xc1f, v2
	v_lshrrev_b32_e32 v49, 19, v10
	v_mul_lo_u16_e32 v10, 0xa9, v49
	v_sub_u16_e32 v50, v2, v10
	v_mad_u64_u32 v[10:11], s[10:11], s20, v50, 0
	v_mov_b32_e32 v2, v11
	v_mad_u64_u32 v[20:21], s[10:11], s21, v50, v[2:3]
	v_mov_b32_e32 v11, v20
	v_mul_lo_u32 v2, s22, v49
	v_lshl_add_u64 v[10:11], v[10:11], 3, s[8:9]
	v_lshl_add_u64 v[10:11], v[2:3], 3, v[10:11]
	v_add_u16_e32 v2, 0x4e0, v0
	global_load_dwordx2 v[20:21], v[4:5], off
	global_load_dwordx2 v[22:23], v[6:7], off
	;; [unrolled: 1-line block ×4, first 2 shown]
	v_mul_u32_u24_e32 v4, 0xc1f, v2
	v_lshrrev_b32_e32 v51, 19, v4
	v_mul_lo_u16_e32 v4, 0xa9, v51
	v_sub_u16_e32 v52, v2, v4
	v_mad_u64_u32 v[4:5], s[10:11], s20, v52, 0
	v_mov_b32_e32 v2, v5
	v_mad_u64_u32 v[6:7], s[10:11], s21, v52, v[2:3]
	v_mov_b32_e32 v5, v6
	v_mul_lo_u32 v2, s22, v51
	v_lshl_add_u64 v[4:5], v[4:5], 3, s[8:9]
	v_lshl_add_u64 v[4:5], v[2:3], 3, v[4:5]
	v_add_u16_e32 v2, 0x57c, v0
	v_mul_u32_u24_e32 v6, 0xc1f, v2
	v_lshrrev_b32_e32 v53, 19, v6
	v_mul_lo_u16_e32 v6, 0xa9, v53
	v_sub_u16_e32 v54, v2, v6
	v_mad_u64_u32 v[6:7], s[10:11], s20, v54, 0
	v_mov_b32_e32 v2, v7
	v_mad_u64_u32 v[8:9], s[10:11], s21, v54, v[2:3]
	v_mov_b32_e32 v7, v8
	v_mul_lo_u32 v2, s22, v53
	v_lshl_add_u64 v[6:7], v[6:7], 3, s[8:9]
	v_lshl_add_u64 v[6:7], v[2:3], 3, v[6:7]
	v_add_u16_e32 v2, 0x618, v0
	;; [unrolled: 12-line block ×4, first 2 shown]
	global_load_dwordx2 v[28:29], v[4:5], off
	global_load_dwordx2 v[30:31], v[6:7], off
	;; [unrolled: 1-line block ×4, first 2 shown]
	v_mul_u32_u24_e32 v4, 0xc1f, v2
	v_lshrrev_b32_e32 v8, 19, v4
	v_mul_lo_u16_e32 v4, 0xa9, v8
	v_sub_u16_e32 v9, v2, v4
	v_mad_u64_u32 v[4:5], s[10:11], s20, v9, 0
	v_mov_b32_e32 v2, v5
	v_mad_u64_u32 v[6:7], s[10:11], s21, v9, v[2:3]
	v_mov_b32_e32 v5, v6
	v_mul_lo_u32 v2, s22, v8
	v_lshl_add_u64 v[4:5], v[4:5], 3, s[8:9]
	v_lshl_add_u64 v[4:5], v[2:3], 3, v[4:5]
	global_load_dwordx2 v[4:5], v[4:5], off
	v_mul_u32_u24_e32 v2, 0x13b2, v0
	s_mov_b32 s0, 0xaaaaaaab
	v_add_u32_sdwa v6, s19, v2 dst_sel:DWORD dst_unused:UNUSED_PAD src0_sel:DWORD src1_sel:WORD_1
	v_mul_hi_u32 v7, v6, s0
	v_lshrrev_b32_e32 v7, 3, v7
	v_mul_lo_u32 v7, v7, 12
	v_sub_u32_e32 v6, v6, v7
	v_mul_u32_u24_e32 v1, 0x550, v1
	v_lshlrev_b32_e32 v7, 3, v36
	v_add3_u32 v1, 0, v1, v7
	s_waitcnt vmcnt(12)
	ds_write_b64 v1, v[12:13]
	v_mul_u32_u24_e32 v1, 0x550, v37
	v_lshlrev_b32_e32 v7, 3, v38
	v_add3_u32 v1, 0, v1, v7
	s_mov_b32 s2, 0x5040100
	s_movk_i32 s0, 0x550
	s_waitcnt vmcnt(11)
	ds_write_b64 v1, v[14:15]
	v_perm_b32 v1, v41, v39, s2
	v_pk_mul_lo_u16 v1, v1, s0 op_sel_hi:[1,0]
	v_lshlrev_b32_e32 v10, 3, v40
	v_and_b32_e32 v7, 0xfff0, v1
	v_add3_u32 v7, 0, v7, v10
	s_waitcnt vmcnt(10)
	ds_write_b64 v7, v[16:17]
	v_lshrrev_b32_e32 v1, 16, v1
	v_lshlrev_b32_e32 v7, 3, v42
	v_add3_u32 v1, 0, v1, v7
	s_waitcnt vmcnt(9)
	ds_write_b64 v1, v[18:19]
	v_perm_b32 v1, v45, v43, s2
	v_pk_mul_lo_u16 v1, v1, s0 op_sel_hi:[1,0]
	v_lshlrev_b32_e32 v10, 3, v44
	v_and_b32_e32 v7, 0xfff0, v1
	v_add3_u32 v7, 0, v7, v10
	s_waitcnt vmcnt(8)
	ds_write_b64 v7, v[20:21]
	v_lshrrev_b32_e32 v1, 16, v1
	v_lshlrev_b32_e32 v7, 3, v46
	v_add3_u32 v1, 0, v1, v7
	s_waitcnt vmcnt(7)
	ds_write_b64 v1, v[22:23]
	v_mul_u32_u24_e32 v1, 0x550, v47
	v_lshlrev_b32_e32 v7, 3, v48
	v_add3_u32 v1, 0, v1, v7
	s_waitcnt vmcnt(6)
	ds_write_b64 v1, v[24:25]
	v_mul_u32_u24_e32 v1, 0x550, v49
	;; [unrolled: 5-line block ×3, first 2 shown]
	v_lshlrev_b32_e32 v7, 3, v52
	v_add3_u32 v1, 0, v1, v7
	v_lshlrev_b32_e32 v7, 3, v54
	v_mul_u32_u24_e32 v6, 0xaa, v6
	s_mov_b32 s8, 0x3f62ad3f
	s_mov_b32 s0, 0x3f116cb1
	;; [unrolled: 1-line block ×8, first 2 shown]
	s_mul_i32 s6, s6, s23
	v_cmp_gt_u32_e32 vcc, 12, v0
	s_waitcnt vmcnt(4)
	ds_write_b64 v1, v[28:29]
	v_mul_u32_u24_e32 v1, 0x550, v53
	v_add3_u32 v1, 0, v1, v7
	s_waitcnt vmcnt(3)
	ds_write_b64 v1, v[30:31]
	v_mul_u32_u24_e32 v1, 0x550, v55
	v_lshlrev_b32_e32 v7, 3, v56
	v_add3_u32 v1, 0, v1, v7
	s_waitcnt vmcnt(2)
	ds_write_b64 v1, v[32:33]
	v_mul_u32_u24_e32 v1, 0x550, v57
	v_lshlrev_b32_e32 v7, 3, v58
	;; [unrolled: 5-line block ×3, first 2 shown]
	v_add3_u32 v1, 0, v1, v7
	s_waitcnt vmcnt(0)
	ds_write_b64 v1, v[4:5]
	v_mov_b32_e32 v1, 13
	v_mul_lo_u16_sdwa v1, v2, v1 dst_sel:DWORD dst_unused:UNUSED_PAD src0_sel:WORD_1 src1_sel:DWORD
	v_sub_u16_e32 v156, v0, v1
	v_lshlrev_b32_e32 v1, 3, v6
	v_lshlrev_b32_e32 v4, 3, v156
	v_add3_u32 v2, 0, v1, v4
	v_add3_u32 v1, 0, v4, v1
	s_waitcnt lgkmcnt(0)
	s_barrier
	ds_read2_b64 v[16:19], v1 offset0:39 offset1:52
	ds_read_b64 v[4:5], v2
	ds_read2_b64 v[8:11], v1 offset0:13 offset1:26
	ds_read2_b64 v[22:25], v1 offset0:65 offset1:78
	ds_read2_b64 v[26:29], v1 offset0:91 offset1:104
	ds_read2_b64 v[30:33], v1 offset0:117 offset1:130
	ds_read2_b64 v[12:15], v1 offset0:143 offset1:156
	s_waitcnt lgkmcnt(4)
	v_pk_add_f32 v[6:7], v[4:5], v[8:9]
	s_waitcnt lgkmcnt(0)
	v_pk_add_f32 v[6:7], v[6:7], v[10:11]
	v_pk_add_f32 v[64:65], v[16:17], v[32:33] neg_lo:[0,1] neg_hi:[0,1]
	v_pk_add_f32 v[6:7], v[6:7], v[16:17]
	v_pk_add_f32 v[56:57], v[8:9], v[14:15] neg_lo:[0,1] neg_hi:[0,1]
	v_pk_add_f32 v[6:7], v[6:7], v[18:19]
	v_pk_add_f32 v[54:55], v[14:15], v[8:9]
	;; [unrolled: 1-line block ×3, first 2 shown]
	v_pk_mul_f32 v[8:9], v[56:57], s[42:43] op_sel_hi:[1,0]
	v_pk_add_f32 v[6:7], v[6:7], v[24:25]
	v_pk_add_f32 v[60:61], v[10:11], v[12:13] neg_lo:[0,1] neg_hi:[0,1]
	v_pk_add_f32 v[6:7], v[6:7], v[26:27]
	v_pk_add_f32 v[58:59], v[12:13], v[10:11]
	;; [unrolled: 1-line block ×5, first 2 shown]
	v_pk_mul_f32 v[16:17], v[64:65], s[34:35] op_sel_hi:[1,0]
	v_pk_add_f32 v[6:7], v[6:7], v[32:33]
	v_pk_add_f32 v[68:69], v[18:19], v[30:31] neg_lo:[0,1] neg_hi:[0,1]
	v_pk_add_f32 v[6:7], v[6:7], v[12:13]
	v_pk_mul_f32 v[12:13], v[60:61], s[24:25] op_sel_hi:[1,0]
	v_pk_add_f32 v[34:35], v[6:7], v[14:15]
	v_pk_fma_f32 v[6:7], v[54:55], s[8:9], v[8:9] op_sel:[0,0,1] op_sel_hi:[1,0,0]
	v_pk_fma_f32 v[8:9], v[54:55], s[8:9], v[8:9] op_sel:[0,0,1] op_sel_hi:[1,0,0] neg_lo:[0,0,1] neg_hi:[0,0,1]
	v_mov_b32_e32 v14, v6
	v_mov_b32_e32 v15, v9
	v_pk_fma_f32 v[10:11], v[58:59], s[0:1], v[12:13] op_sel:[0,0,1] op_sel_hi:[1,0,0]
	v_pk_fma_f32 v[12:13], v[58:59], s[0:1], v[12:13] op_sel:[0,0,1] op_sel_hi:[1,0,0] neg_lo:[0,0,1] neg_hi:[0,0,1]
	v_pk_add_f32 v[14:15], v[4:5], v[14:15]
	v_mov_b32_e32 v20, v10
	v_mov_b32_e32 v21, v13
	v_pk_add_f32 v[20:21], v[20:21], v[14:15]
	v_pk_fma_f32 v[14:15], v[62:63], s[2:3], v[16:17] op_sel:[0,0,1] op_sel_hi:[1,0,0]
	v_pk_fma_f32 v[16:17], v[62:63], s[2:3], v[16:17] op_sel:[0,0,1] op_sel_hi:[1,0,0] neg_lo:[0,0,1] neg_hi:[0,0,1]
	v_mov_b32_e32 v32, v14
	v_mov_b32_e32 v33, v17
	v_pk_add_f32 v[32:33], v[32:33], v[20:21]
	v_pk_add_f32 v[66:67], v[30:31], v[18:19]
	v_pk_mul_f32 v[20:21], v[68:69], s[12:13] op_sel_hi:[1,0]
	v_pk_add_f32 v[72:73], v[22:23], v[28:29] neg_lo:[0,1] neg_hi:[0,1]
	v_pk_fma_f32 v[18:19], v[66:67], s[10:11], v[20:21] op_sel:[0,0,1] op_sel_hi:[1,0,0]
	v_pk_fma_f32 v[20:21], v[66:67], s[10:11], v[20:21] op_sel:[0,0,1] op_sel_hi:[1,0,0] neg_lo:[0,0,1] neg_hi:[0,0,1]
	v_pk_add_f32 v[70:71], v[28:29], v[22:23]
	v_pk_mul_f32 v[28:29], v[72:73], s[22:23] op_sel_hi:[1,0]
	v_mov_b32_e32 v30, v18
	v_mov_b32_e32 v31, v21
	v_pk_add_f32 v[74:75], v[26:27], v[24:25]
	v_pk_add_f32 v[76:77], v[24:25], v[26:27] neg_lo:[0,1] neg_hi:[0,1]
	v_pk_fma_f32 v[22:23], v[70:71], s[20:21], v[28:29] op_sel:[0,0,1] op_sel_hi:[1,0,0]
	v_pk_fma_f32 v[24:25], v[70:71], s[20:21], v[28:29] op_sel:[0,0,1] op_sel_hi:[1,0,0] neg_lo:[0,0,1] neg_hi:[0,0,1]
	v_pk_add_f32 v[30:31], v[30:31], v[32:33]
	v_mov_b32_e32 v26, v22
	v_mov_b32_e32 v27, v25
	v_pk_mul_f32 v[28:29], v[76:77], s[28:29] op_sel_hi:[1,0]
	v_pk_add_f32 v[30:31], v[26:27], v[30:31]
	v_pk_fma_f32 v[26:27], v[74:75], s[26:27], v[28:29] op_sel:[0,0,1] op_sel_hi:[1,0,0]
	v_pk_fma_f32 v[28:29], v[74:75], s[26:27], v[28:29] op_sel:[0,0,1] op_sel_hi:[1,0,0] neg_lo:[0,0,1] neg_hi:[0,0,1]
	v_mov_b32_e32 v32, v26
	v_mov_b32_e32 v33, v29
	s_movk_i32 s9, 0x60
	v_pk_add_f32 v[30:31], v[32:33], v[30:31]
	v_mad_u32_u24 v6, v156, s9, v1
	v_pk_mul_f32 v[32:33], v[56:57], s[24:25] op_sel_hi:[1,0]
	s_barrier
	ds_write2_b64 v6, v[34:35], v[30:31] offset1:1
	v_pk_fma_f32 v[30:31], v[54:55], s[0:1], v[32:33] op_sel:[0,0,1] op_sel_hi:[1,0,0]
	v_pk_fma_f32 v[32:33], v[54:55], s[0:1], v[32:33] op_sel:[0,0,1] op_sel_hi:[1,0,0] neg_lo:[0,0,1] neg_hi:[0,0,1]
	v_mov_b32_e32 v34, v30
	v_mov_b32_e32 v35, v33
	v_pk_mul_f32 v[36:37], v[60:61], s[12:13] op_sel_hi:[1,0]
	v_pk_add_f32 v[38:39], v[4:5], v[34:35]
	v_pk_fma_f32 v[34:35], v[58:59], s[10:11], v[36:37] op_sel:[0,0,1] op_sel_hi:[1,0,0]
	v_pk_fma_f32 v[36:37], v[58:59], s[10:11], v[36:37] op_sel:[0,0,1] op_sel_hi:[1,0,0] neg_lo:[0,0,1] neg_hi:[0,0,1]
	v_mov_b32_e32 v40, v34
	v_mov_b32_e32 v41, v37
	v_pk_add_f32 v[42:43], v[40:41], v[38:39]
	v_pk_mul_f32 v[40:41], v[64:65], s[28:29] op_sel_hi:[1,0]
	v_pk_mul_f32 v[86:87], v[60:61], s[28:29] op_sel_hi:[1,0]
	v_pk_fma_f32 v[38:39], v[62:63], s[26:27], v[40:41] op_sel:[0,0,1] op_sel_hi:[1,0,0]
	v_pk_fma_f32 v[40:41], v[62:63], s[26:27], v[40:41] op_sel:[0,0,1] op_sel_hi:[1,0,0] neg_lo:[0,0,1] neg_hi:[0,0,1]
	v_mov_b32_e32 v44, v38
	v_mov_b32_e32 v45, v41
	v_pk_add_f32 v[46:47], v[44:45], v[42:43]
	v_pk_mul_f32 v[44:45], v[68:69], s[38:39] op_sel_hi:[1,0]
	v_pk_fma_f32 v[88:89], v[58:59], s[26:27], v[86:87] op_sel:[0,0,1] op_sel_hi:[1,0,0]
	v_pk_fma_f32 v[42:43], v[66:67], s[20:21], v[44:45] op_sel:[0,0,1] op_sel_hi:[1,0,0]
	v_pk_fma_f32 v[44:45], v[66:67], s[20:21], v[44:45] op_sel:[0,0,1] op_sel_hi:[1,0,0] neg_lo:[0,0,1] neg_hi:[0,0,1]
	v_mov_b32_e32 v48, v42
	v_mov_b32_e32 v49, v45
	v_pk_add_f32 v[50:51], v[48:49], v[46:47]
	v_pk_mul_f32 v[48:49], v[72:73], s[30:31] op_sel_hi:[1,0]
	v_pk_fma_f32 v[86:87], v[58:59], s[26:27], v[86:87] op_sel:[0,0,1] op_sel_hi:[1,0,0] neg_lo:[0,0,1] neg_hi:[0,0,1]
	v_pk_fma_f32 v[46:47], v[70:71], s[2:3], v[48:49] op_sel:[0,0,1] op_sel_hi:[1,0,0]
	v_pk_fma_f32 v[48:49], v[70:71], s[2:3], v[48:49] op_sel:[0,0,1] op_sel_hi:[1,0,0] neg_lo:[0,0,1] neg_hi:[0,0,1]
	v_mov_b32_e32 v52, v46
	v_mov_b32_e32 v53, v49
	v_pk_add_f32 v[78:79], v[52:53], v[50:51]
	v_pk_mul_f32 v[52:53], v[76:77], s[36:37] op_sel_hi:[1,0]
	v_mov_b32_e32 v90, v88
	v_pk_fma_f32 v[50:51], v[74:75], s[8:9], v[52:53] op_sel:[0,0,1] op_sel_hi:[1,0,0]
	v_pk_fma_f32 v[52:53], v[74:75], s[8:9], v[52:53] op_sel:[0,0,1] op_sel_hi:[1,0,0] neg_lo:[0,0,1] neg_hi:[0,0,1]
	v_mov_b32_e32 v80, v50
	v_mov_b32_e32 v81, v53
	v_pk_add_f32 v[78:79], v[80:81], v[78:79]
	v_pk_mul_f32 v[80:81], v[56:57], s[34:35] op_sel_hi:[1,0]
	v_mov_b32_e32 v91, v87
	v_pk_fma_f32 v[82:83], v[54:55], s[2:3], v[80:81] op_sel:[0,0,1] op_sel_hi:[1,0,0]
	v_pk_fma_f32 v[80:81], v[54:55], s[2:3], v[80:81] op_sel:[0,0,1] op_sel_hi:[1,0,0] neg_lo:[0,0,1] neg_hi:[0,0,1]
	v_mov_b32_e32 v84, v82
	v_mov_b32_e32 v85, v81
	v_pk_add_f32 v[84:85], v[4:5], v[84:85]
	v_pk_mul_f32 v[108:109], v[60:61], s[38:39] op_sel_hi:[1,0]
	v_pk_add_f32 v[84:85], v[90:91], v[84:85]
	v_pk_mul_f32 v[90:91], v[64:65], s[46:47] op_sel_hi:[1,0]
	v_pk_fma_f32 v[110:111], v[58:59], s[20:21], v[108:109] op_sel:[0,0,1] op_sel_hi:[1,0,0]
	v_pk_fma_f32 v[92:93], v[62:63], s[10:11], v[90:91] op_sel:[0,0,1] op_sel_hi:[1,0,0]
	v_pk_fma_f32 v[90:91], v[62:63], s[10:11], v[90:91] op_sel:[0,0,1] op_sel_hi:[1,0,0] neg_lo:[0,0,1] neg_hi:[0,0,1]
	v_mov_b32_e32 v94, v92
	v_mov_b32_e32 v95, v91
	v_pk_add_f32 v[84:85], v[94:95], v[84:85]
	v_pk_mul_f32 v[94:95], v[68:69], s[36:37] op_sel_hi:[1,0]
	v_pk_fma_f32 v[108:109], v[58:59], s[20:21], v[108:109] op_sel:[0,0,1] op_sel_hi:[1,0,0] neg_lo:[0,0,1] neg_hi:[0,0,1]
	v_pk_fma_f32 v[96:97], v[66:67], s[8:9], v[94:95] op_sel:[0,0,1] op_sel_hi:[1,0,0]
	v_pk_fma_f32 v[94:95], v[66:67], s[8:9], v[94:95] op_sel:[0,0,1] op_sel_hi:[1,0,0] neg_lo:[0,0,1] neg_hi:[0,0,1]
	v_mov_b32_e32 v98, v96
	v_mov_b32_e32 v99, v95
	v_pk_add_f32 v[84:85], v[98:99], v[84:85]
	v_pk_mul_f32 v[98:99], v[72:73], s[24:25] op_sel_hi:[1,0]
	v_mov_b32_e32 v112, v110
	v_pk_fma_f32 v[100:101], v[70:71], s[0:1], v[98:99] op_sel:[0,0,1] op_sel_hi:[1,0,0]
	v_pk_fma_f32 v[98:99], v[70:71], s[0:1], v[98:99] op_sel:[0,0,1] op_sel_hi:[1,0,0] neg_lo:[0,0,1] neg_hi:[0,0,1]
	v_mov_b32_e32 v102, v100
	v_mov_b32_e32 v103, v99
	v_pk_add_f32 v[84:85], v[102:103], v[84:85]
	v_pk_mul_f32 v[102:103], v[76:77], s[22:23] op_sel_hi:[1,0]
	v_mov_b32_e32 v113, v109
	v_pk_fma_f32 v[104:105], v[74:75], s[20:21], v[102:103] op_sel:[0,0,1] op_sel_hi:[1,0,0]
	v_pk_fma_f32 v[102:103], v[74:75], s[20:21], v[102:103] op_sel:[0,0,1] op_sel_hi:[1,0,0] neg_lo:[0,0,1] neg_hi:[0,0,1]
	v_mov_b32_e32 v106, v104
	v_mov_b32_e32 v107, v103
	v_pk_add_f32 v[84:85], v[106:107], v[84:85]
	ds_write2_b64 v6, v[78:79], v[84:85] offset0:2 offset1:3
	v_pk_mul_f32 v[78:79], v[56:57], s[12:13] op_sel_hi:[1,0]
	v_pk_mul_f32 v[134:135], v[60:61], s[30:31] op_sel_hi:[1,0]
	v_pk_fma_f32 v[84:85], v[54:55], s[10:11], v[78:79] op_sel:[0,0,1] op_sel_hi:[1,0,0]
	v_pk_fma_f32 v[78:79], v[54:55], s[10:11], v[78:79] op_sel:[0,0,1] op_sel_hi:[1,0,0] neg_lo:[0,0,1] neg_hi:[0,0,1]
	v_mov_b32_e32 v106, v84
	v_mov_b32_e32 v107, v79
	v_pk_add_f32 v[106:107], v[4:5], v[106:107]
	v_pk_fma_f32 v[136:137], v[58:59], s[2:3], v[134:135] op_sel:[0,0,1] op_sel_hi:[1,0,0]
	v_pk_add_f32 v[106:107], v[112:113], v[106:107]
	v_pk_mul_f32 v[112:113], v[64:65], s[36:37] op_sel_hi:[1,0]
	v_pk_fma_f32 v[134:135], v[58:59], s[2:3], v[134:135] op_sel:[0,0,1] op_sel_hi:[1,0,0] neg_lo:[0,0,1] neg_hi:[0,0,1]
	v_pk_fma_f32 v[114:115], v[62:63], s[8:9], v[112:113] op_sel:[0,0,1] op_sel_hi:[1,0,0]
	v_pk_fma_f32 v[112:113], v[62:63], s[8:9], v[112:113] op_sel:[0,0,1] op_sel_hi:[1,0,0] neg_lo:[0,0,1] neg_hi:[0,0,1]
	v_mov_b32_e32 v116, v114
	v_mov_b32_e32 v117, v113
	v_pk_add_f32 v[106:107], v[116:117], v[106:107]
	v_pk_mul_f32 v[116:117], v[68:69], s[34:35] op_sel_hi:[1,0]
	v_mov_b32_e32 v138, v136
	v_pk_fma_f32 v[118:119], v[66:67], s[2:3], v[116:117] op_sel:[0,0,1] op_sel_hi:[1,0,0]
	v_pk_fma_f32 v[116:117], v[66:67], s[2:3], v[116:117] op_sel:[0,0,1] op_sel_hi:[1,0,0] neg_lo:[0,0,1] neg_hi:[0,0,1]
	v_mov_b32_e32 v120, v118
	v_mov_b32_e32 v121, v117
	v_pk_add_f32 v[106:107], v[120:121], v[106:107]
	v_pk_mul_f32 v[120:121], v[72:73], s[44:45] op_sel_hi:[1,0]
	v_mov_b32_e32 v139, v135
	;; [unrolled: 7-line block ×3, first 2 shown]
	v_pk_fma_f32 v[126:127], v[74:75], s[0:1], v[124:125] op_sel:[0,0,1] op_sel_hi:[1,0,0]
	v_pk_fma_f32 v[124:125], v[74:75], s[0:1], v[124:125] op_sel:[0,0,1] op_sel_hi:[1,0,0] neg_lo:[0,0,1] neg_hi:[0,0,1]
	v_mov_b32_e32 v128, v126
	v_mov_b32_e32 v129, v125
	v_pk_add_f32 v[106:107], v[128:129], v[106:107]
	v_pk_mul_f32 v[128:129], v[56:57], s[22:23] op_sel_hi:[1,0]
	v_pk_mul_f32 v[56:57], v[56:57], s[28:29] op_sel_hi:[1,0]
	v_pk_fma_f32 v[130:131], v[54:55], s[20:21], v[128:129] op_sel:[0,0,1] op_sel_hi:[1,0,0]
	v_pk_fma_f32 v[128:129], v[54:55], s[20:21], v[128:129] op_sel:[0,0,1] op_sel_hi:[1,0,0] neg_lo:[0,0,1] neg_hi:[0,0,1]
	v_mov_b32_e32 v132, v130
	v_mov_b32_e32 v133, v129
	v_pk_add_f32 v[132:133], v[4:5], v[132:133]
	v_mov_b32_e32 v129, v131
	v_pk_add_f32 v[132:133], v[138:139], v[132:133]
	v_pk_mul_f32 v[138:139], v[64:65], s[24:25] op_sel_hi:[1,0]
	v_pk_mul_f32 v[64:65], v[64:65], s[22:23] op_sel_hi:[1,0]
	v_pk_fma_f32 v[140:141], v[62:63], s[0:1], v[138:139] op_sel:[0,0,1] op_sel_hi:[1,0,0]
	v_pk_fma_f32 v[138:139], v[62:63], s[0:1], v[138:139] op_sel:[0,0,1] op_sel_hi:[1,0,0] neg_lo:[0,0,1] neg_hi:[0,0,1]
	v_mov_b32_e32 v142, v140
	v_mov_b32_e32 v143, v139
	v_pk_add_f32 v[132:133], v[142:143], v[132:133]
	v_pk_mul_f32 v[142:143], v[68:69], s[44:45] op_sel_hi:[1,0]
	v_mov_b32_e32 v135, v137
	v_pk_fma_f32 v[144:145], v[66:67], s[26:27], v[142:143] op_sel:[0,0,1] op_sel_hi:[1,0,0]
	v_pk_fma_f32 v[142:143], v[66:67], s[26:27], v[142:143] op_sel:[0,0,1] op_sel_hi:[1,0,0] neg_lo:[0,0,1] neg_hi:[0,0,1]
	v_mov_b32_e32 v146, v144
	v_mov_b32_e32 v147, v143
	v_pk_add_f32 v[132:133], v[146:147], v[132:133]
	v_pk_mul_f32 v[146:147], v[72:73], s[36:37] op_sel_hi:[1,0]
	v_mov_b32_e32 v109, v111
	;; [unrolled: 7-line block ×3, first 2 shown]
	v_pk_fma_f32 v[152:153], v[74:75], s[10:11], v[150:151] op_sel:[0,0,1] op_sel_hi:[1,0,0]
	v_pk_fma_f32 v[150:151], v[74:75], s[10:11], v[150:151] op_sel:[0,0,1] op_sel_hi:[1,0,0] neg_lo:[0,0,1] neg_hi:[0,0,1]
	v_mov_b32_e32 v154, v152
	v_mov_b32_e32 v155, v151
	v_pk_add_f32 v[132:133], v[154:155], v[132:133]
	ds_write2_b64 v6, v[106:107], v[132:133] offset0:4 offset1:5
	v_pk_fma_f32 v[106:107], v[54:55], s[26:27], v[56:57] op_sel:[0,0,1] op_sel_hi:[1,0,0]
	v_pk_fma_f32 v[54:55], v[54:55], s[26:27], v[56:57] op_sel:[0,0,1] op_sel_hi:[1,0,0] neg_lo:[0,0,1] neg_hi:[0,0,1]
	v_pk_mul_f32 v[56:57], v[60:61], s[36:37] op_sel_hi:[1,0]
	v_mov_b32_e32 v113, v115
	v_pk_fma_f32 v[60:61], v[58:59], s[8:9], v[56:57] op_sel:[0,0,1] op_sel_hi:[1,0,0]
	v_pk_fma_f32 v[56:57], v[58:59], s[8:9], v[56:57] op_sel:[0,0,1] op_sel_hi:[1,0,0] neg_lo:[0,0,1] neg_hi:[0,0,1]
	v_mov_b32_e32 v58, v106
	v_mov_b32_e32 v59, v55
	v_pk_add_f32 v[58:59], v[4:5], v[58:59]
	v_mov_b32_e32 v132, v60
	v_mov_b32_e32 v133, v57
	v_pk_add_f32 v[58:59], v[132:133], v[58:59]
	v_pk_fma_f32 v[132:133], v[62:63], s[20:21], v[64:65] op_sel:[0,0,1] op_sel_hi:[1,0,0]
	v_pk_fma_f32 v[62:63], v[62:63], s[20:21], v[64:65] op_sel:[0,0,1] op_sel_hi:[1,0,0] neg_lo:[0,0,1] neg_hi:[0,0,1]
	v_mov_b32_e32 v64, v132
	v_mov_b32_e32 v65, v63
	v_pk_add_f32 v[58:59], v[64:65], v[58:59]
	v_pk_mul_f32 v[64:65], v[68:69], s[40:41] op_sel_hi:[1,0]
	v_mov_b32_e32 v55, v107
	v_pk_fma_f32 v[68:69], v[66:67], s[0:1], v[64:65] op_sel:[0,0,1] op_sel_hi:[1,0,0]
	v_pk_fma_f32 v[64:65], v[66:67], s[0:1], v[64:65] op_sel:[0,0,1] op_sel_hi:[1,0,0] neg_lo:[0,0,1] neg_hi:[0,0,1]
	v_mov_b32_e32 v66, v68
	v_mov_b32_e32 v67, v65
	v_pk_add_f32 v[58:59], v[66:67], v[58:59]
	v_pk_mul_f32 v[66:67], v[72:73], s[12:13] op_sel_hi:[1,0]
	v_mov_b32_e32 v57, v61
	v_pk_fma_f32 v[72:73], v[70:71], s[10:11], v[66:67] op_sel:[0,0,1] op_sel_hi:[1,0,0]
	v_pk_fma_f32 v[66:67], v[70:71], s[10:11], v[66:67] op_sel:[0,0,1] op_sel_hi:[1,0,0] neg_lo:[0,0,1] neg_hi:[0,0,1]
	v_pk_add_f32 v[54:55], v[4:5], v[54:55]
	v_mov_b32_e32 v70, v72
	v_mov_b32_e32 v71, v67
	v_pk_add_f32 v[54:55], v[56:57], v[54:55]
	v_mov_b32_e32 v63, v133
	v_pk_add_f32 v[58:59], v[70:71], v[58:59]
	v_pk_mul_f32 v[70:71], v[76:77], s[30:31] op_sel_hi:[1,0]
	v_pk_add_f32 v[54:55], v[62:63], v[54:55]
	v_mov_b32_e32 v65, v69
	v_pk_fma_f32 v[76:77], v[74:75], s[2:3], v[70:71] op_sel:[0,0,1] op_sel_hi:[1,0,0]
	v_pk_fma_f32 v[70:71], v[74:75], s[2:3], v[70:71] op_sel:[0,0,1] op_sel_hi:[1,0,0] neg_lo:[0,0,1] neg_hi:[0,0,1]
	v_pk_add_f32 v[54:55], v[64:65], v[54:55]
	v_mov_b32_e32 v67, v73
	v_mov_b32_e32 v74, v76
	;; [unrolled: 1-line block ×3, first 2 shown]
	v_pk_add_f32 v[54:55], v[66:67], v[54:55]
	v_mov_b32_e32 v71, v77
	v_pk_add_f32 v[58:59], v[74:75], v[58:59]
	v_pk_add_f32 v[54:55], v[70:71], v[54:55]
	ds_write2_b64 v6, v[58:59], v[54:55] offset0:6 offset1:7
	v_pk_add_f32 v[54:55], v[4:5], v[128:129]
	v_pk_add_f32 v[56:57], v[4:5], v[78:79]
	;; [unrolled: 1-line block ×5, first 2 shown]
	v_mov_b32_e32 v143, v145
	v_pk_add_f32 v[56:57], v[112:113], v[56:57]
	v_mov_b32_e32 v117, v119
	v_pk_add_f32 v[54:55], v[142:143], v[54:55]
	;; [unrolled: 2-line block ×6, first 2 shown]
	v_pk_add_f32 v[56:57], v[124:125], v[56:57]
	v_mov_b32_e32 v81, v83
	v_mov_b32_e32 v33, v31
	;; [unrolled: 1-line block ×3, first 2 shown]
	ds_write2_b64 v6, v[54:55], v[56:57] offset0:8 offset1:9
	v_pk_add_f32 v[54:55], v[4:5], v[80:81]
	v_pk_add_f32 v[30:31], v[4:5], v[32:33]
	;; [unrolled: 1-line block ×3, first 2 shown]
	v_mov_b32_e32 v13, v11
	v_pk_add_f32 v[4:5], v[12:13], v[4:5]
	v_mov_b32_e32 v17, v15
	v_mov_b32_e32 v87, v89
	;; [unrolled: 1-line block ×3, first 2 shown]
	v_pk_add_f32 v[4:5], v[16:17], v[4:5]
	v_mov_b32_e32 v21, v19
	v_pk_add_f32 v[54:55], v[86:87], v[54:55]
	v_mov_b32_e32 v91, v93
	;; [unrolled: 2-line block ×9, first 2 shown]
	v_pk_add_f32 v[4:5], v[28:29], v[4:5]
	v_pk_add_f32 v[54:55], v[98:99], v[54:55]
	v_mov_b32_e32 v103, v105
	v_pk_add_f32 v[30:31], v[48:49], v[30:31]
	v_mov_b32_e32 v53, v51
	ds_write_b64 v6, v[4:5] offset:96
	v_mul_u32_u24_e32 v4, 12, v156
	v_pk_add_f32 v[54:55], v[102:103], v[54:55]
	v_pk_add_f32 v[30:31], v[52:53], v[30:31]
	v_lshlrev_b32_e32 v4, 3, v4
	ds_write2_b64 v6, v[54:55], v[30:31] offset0:10 offset1:11
	s_waitcnt lgkmcnt(0)
	s_barrier
	global_load_dwordx4 v[6:9], v4, s[4:5] offset:16
	global_load_dwordx4 v[10:13], v4, s[4:5] offset:32
	;; [unrolled: 1-line block ×5, first 2 shown]
	global_load_dwordx4 v[26:29], v4, s[4:5]
	ds_read2_b64 v[30:33], v1 offset0:13 offset1:26
	ds_read_b64 v[4:5], v2
	ds_read_b64 v[50:51], v1 offset:312
	ds_read2_b32 v[52:53], v1 offset0:104 offset1:105
	ds_read2_b64 v[34:37], v1 offset0:65 offset1:78
	ds_read2_b64 v[38:41], v1 offset0:91 offset1:104
	;; [unrolled: 1-line block ×4, first 2 shown]
	s_waitcnt lgkmcnt(4)
	v_mov_b32_e32 v2, v53
	v_mov_b32_e32 v54, v53
	s_waitcnt lgkmcnt(0)
	s_barrier
	s_waitcnt vmcnt(5)
	v_mov_b32_e32 v56, v9
	v_mov_b32_e32 v57, v8
	v_pk_mul_f32 v[8:9], v[8:9], v[52:53] op_sel_hi:[1,0]
	s_nop 0
	v_pk_fma_f32 v[52:53], v[2:3], v[56:57], v[8:9]
	v_pk_fma_f32 v[8:9], v[54:55], v[56:57], v[8:9] op_sel_hi:[0,1,1] neg_lo:[0,0,1] neg_hi:[0,0,1]
	v_mov_b32_e32 v53, v9
	s_waitcnt vmcnt(4)
	v_pk_mul_f32 v[8:9], v[34:35], v[10:11] op_sel:[0,1]
	v_mov_b32_e32 v2, v13
	v_pk_fma_f32 v[54:55], v[34:35], v[10:11], v[8:9] op_sel:[0,0,1] op_sel_hi:[1,1,0]
	v_pk_fma_f32 v[8:9], v[34:35], v[10:11], v[8:9] op_sel:[0,0,1] op_sel_hi:[1,0,0] neg_lo:[0,0,1] neg_hi:[0,0,1]
	s_nop 0
	v_mov_b32_e32 v55, v9
	v_pk_mul_f32 v[8:9], v[36:37], v[2:3] op_sel_hi:[1,0]
	s_waitcnt vmcnt(3)
	v_mov_b32_e32 v2, v17
	v_pk_fma_f32 v[34:35], v[36:37], v[12:13], v[8:9] op_sel:[0,0,1] op_sel_hi:[1,1,0]
	v_pk_fma_f32 v[8:9], v[36:37], v[12:13], v[8:9] op_sel:[0,0,1] op_sel_hi:[1,0,0] neg_lo:[0,0,1] neg_hi:[0,0,1]
	s_nop 0
	v_mov_b32_e32 v35, v9
	v_pk_mul_f32 v[8:9], v[38:39], v[14:15] op_sel:[0,1]
	s_nop 0
	v_pk_fma_f32 v[36:37], v[38:39], v[14:15], v[8:9] op_sel:[0,0,1] op_sel_hi:[1,1,0]
	v_pk_fma_f32 v[8:9], v[38:39], v[14:15], v[8:9] op_sel:[0,0,1] op_sel_hi:[1,0,0] neg_lo:[0,0,1] neg_hi:[0,0,1]
	s_nop 0
	v_mov_b32_e32 v37, v9
	v_pk_mul_f32 v[8:9], v[40:41], v[2:3] op_sel_hi:[1,0]
	s_waitcnt vmcnt(2)
	v_mov_b32_e32 v2, v21
	v_pk_fma_f32 v[38:39], v[40:41], v[16:17], v[8:9] op_sel:[0,0,1] op_sel_hi:[1,1,0]
	v_pk_fma_f32 v[8:9], v[40:41], v[16:17], v[8:9] op_sel:[0,0,1] op_sel_hi:[1,0,0] neg_lo:[0,0,1] neg_hi:[0,0,1]
	v_pk_add_f32 v[68:69], v[34:35], v[36:37] neg_lo:[0,1] neg_hi:[0,1]
	v_mov_b32_e32 v39, v9
	v_pk_mul_f32 v[8:9], v[42:43], v[18:19] op_sel:[0,1]
	v_pk_add_f32 v[64:65], v[54:55], v[38:39]
	v_pk_fma_f32 v[40:41], v[42:43], v[18:19], v[8:9] op_sel:[0,0,1] op_sel_hi:[1,1,0]
	v_pk_fma_f32 v[8:9], v[42:43], v[18:19], v[8:9] op_sel:[0,0,1] op_sel_hi:[1,0,0] neg_lo:[0,0,1] neg_hi:[0,0,1]
	v_pk_add_f32 v[66:67], v[34:35], v[36:37]
	v_mov_b32_e32 v41, v9
	v_pk_mul_f32 v[8:9], v[44:45], v[2:3] op_sel_hi:[1,0]
	s_waitcnt vmcnt(1)
	v_mov_b32_e32 v2, v25
	v_pk_fma_f32 v[14:15], v[44:45], v[20:21], v[8:9] op_sel:[0,0,1] op_sel_hi:[1,1,0]
	v_pk_fma_f32 v[8:9], v[44:45], v[20:21], v[8:9] op_sel:[0,0,1] op_sel_hi:[1,0,0] neg_lo:[0,0,1] neg_hi:[0,0,1]
	v_pk_add_f32 v[62:63], v[52:53], v[40:41]
	v_mov_b32_e32 v15, v9
	v_pk_mul_f32 v[8:9], v[46:47], v[22:23] op_sel:[0,1]
	s_nop 0
	v_pk_fma_f32 v[10:11], v[46:47], v[22:23], v[8:9] op_sel:[0,0,1] op_sel_hi:[1,1,0]
	v_pk_fma_f32 v[8:9], v[46:47], v[22:23], v[8:9] op_sel:[0,0,1] op_sel_hi:[1,0,0] neg_lo:[0,0,1] neg_hi:[0,0,1]
	s_nop 0
	v_mov_b32_e32 v11, v9
	v_pk_mul_f32 v[8:9], v[48:49], v[2:3] op_sel_hi:[1,0]
	v_mov_b32_e32 v2, v31
	v_pk_fma_f32 v[12:13], v[48:49], v[24:25], v[8:9] op_sel:[0,0,1] op_sel_hi:[1,1,0]
	v_pk_fma_f32 v[8:9], v[48:49], v[24:25], v[8:9] op_sel:[0,0,1] op_sel_hi:[1,0,0] neg_lo:[0,0,1] neg_hi:[0,0,1]
	s_nop 0
	v_mov_b32_e32 v13, v9
	s_waitcnt vmcnt(0)
	v_pk_mul_f32 v[8:9], v[26:27], v[30:31] op_sel_hi:[1,0]
	s_nop 0
	v_pk_fma_f32 v[16:17], v[26:27], v[2:3], v[8:9] op_sel:[1,0,0] op_sel_hi:[0,1,1]
	v_pk_fma_f32 v[8:9], v[26:27], v[30:31], v[8:9] op_sel:[1,1,0] op_sel_hi:[0,1,1] neg_lo:[0,0,1] neg_hi:[0,0,1]
	v_mov_b32_e32 v17, v9
	v_pk_mul_f32 v[8:9], v[28:29], v[32:33] op_sel:[0,1]
	v_pk_add_f32 v[48:49], v[16:17], v[12:13] neg_lo:[0,1] neg_hi:[0,1]
	v_pk_fma_f32 v[18:19], v[28:29], v[32:33], v[8:9] op_sel:[0,0,1] op_sel_hi:[1,1,0]
	v_pk_fma_f32 v[8:9], v[28:29], v[32:33], v[8:9] op_sel:[0,0,1] op_sel_hi:[1,0,0] neg_lo:[1,0,0] neg_hi:[1,0,0]
	v_pk_add_f32 v[46:47], v[16:17], v[12:13]
	v_mov_b32_e32 v19, v9
	v_pk_mul_f32 v[8:9], v[6:7], v[50:51] op_sel:[0,1]
	v_pk_add_f32 v[56:57], v[18:19], v[10:11] neg_lo:[0,1] neg_hi:[0,1]
	v_pk_fma_f32 v[20:21], v[6:7], v[50:51], v[8:9] op_sel:[0,0,1] op_sel_hi:[1,1,0]
	v_pk_fma_f32 v[6:7], v[6:7], v[50:51], v[8:9] op_sel:[0,0,1] op_sel_hi:[1,0,0] neg_lo:[1,0,0] neg_hi:[1,0,0]
	v_pk_mul_f32 v[8:9], v[48:49], s[42:43] op_sel_hi:[1,0]
	v_mov_b32_e32 v21, v7
	v_pk_add_f32 v[6:7], v[16:17], v[4:5]
	v_pk_add_f32 v[50:51], v[18:19], v[10:11]
	;; [unrolled: 1-line block ×3, first 2 shown]
	v_pk_add_f32 v[60:61], v[20:21], v[14:15] neg_lo:[0,1] neg_hi:[0,1]
	v_pk_add_f32 v[6:7], v[6:7], v[20:21]
	v_pk_add_f32 v[58:59], v[20:21], v[14:15]
	;; [unrolled: 1-line block ×3, first 2 shown]
	v_pk_add_f32 v[52:53], v[52:53], v[40:41] neg_lo:[0,1] neg_hi:[0,1]
	v_pk_add_f32 v[6:7], v[6:7], v[54:55]
	v_pk_add_f32 v[54:55], v[54:55], v[38:39] neg_lo:[0,1] neg_hi:[0,1]
	v_pk_add_f32 v[6:7], v[6:7], v[34:35]
	v_pk_mul_f32 v[86:87], v[56:57], s[28:29] op_sel_hi:[1,0]
	v_pk_add_f32 v[6:7], v[6:7], v[36:37]
	v_pk_mul_f32 v[36:37], v[56:57], s[12:13] op_sel_hi:[1,0]
	v_pk_add_f32 v[6:7], v[6:7], v[38:39]
	v_pk_fma_f32 v[88:89], v[50:51], s[26:27], v[86:87] op_sel:[0,0,1] op_sel_hi:[1,0,0]
	v_pk_add_f32 v[6:7], v[6:7], v[40:41]
	v_pk_fma_f32 v[86:87], v[50:51], s[26:27], v[86:87] op_sel:[0,0,1] op_sel_hi:[1,0,0] neg_lo:[0,0,1] neg_hi:[0,0,1]
	v_pk_add_f32 v[6:7], v[6:7], v[14:15]
	v_mov_b32_e32 v90, v88
	v_pk_add_f32 v[6:7], v[6:7], v[10:11]
	v_mov_b32_e32 v91, v87
	v_pk_add_f32 v[30:31], v[6:7], v[12:13]
	v_pk_fma_f32 v[6:7], v[46:47], s[8:9], v[8:9] op_sel:[0,0,1] op_sel_hi:[1,0,0]
	v_pk_fma_f32 v[8:9], v[46:47], s[8:9], v[8:9] op_sel:[0,0,1] op_sel_hi:[1,0,0] neg_lo:[0,0,1] neg_hi:[0,0,1]
	v_mov_b32_e32 v12, v6
	v_mov_b32_e32 v13, v9
	v_pk_add_f32 v[16:17], v[12:13], v[4:5]
	v_pk_mul_f32 v[12:13], v[56:57], s[24:25] op_sel_hi:[1,0]
	v_pk_mul_f32 v[108:109], v[56:57], s[38:39] op_sel_hi:[1,0]
	v_pk_fma_f32 v[10:11], v[50:51], s[0:1], v[12:13] op_sel:[0,0,1] op_sel_hi:[1,0,0]
	v_pk_fma_f32 v[12:13], v[50:51], s[0:1], v[12:13] op_sel:[0,0,1] op_sel_hi:[1,0,0] neg_lo:[0,0,1] neg_hi:[0,0,1]
	v_mov_b32_e32 v18, v10
	v_mov_b32_e32 v19, v13
	v_pk_add_f32 v[18:19], v[18:19], v[16:17]
	v_pk_mul_f32 v[16:17], v[60:61], s[34:35] op_sel_hi:[1,0]
	v_pk_fma_f32 v[110:111], v[50:51], s[20:21], v[108:109] op_sel:[0,0,1] op_sel_hi:[1,0,0]
	v_pk_fma_f32 v[14:15], v[58:59], s[2:3], v[16:17] op_sel:[0,0,1] op_sel_hi:[1,0,0]
	v_pk_fma_f32 v[16:17], v[58:59], s[2:3], v[16:17] op_sel:[0,0,1] op_sel_hi:[1,0,0] neg_lo:[0,0,1] neg_hi:[0,0,1]
	v_mov_b32_e32 v20, v14
	v_mov_b32_e32 v21, v17
	v_pk_add_f32 v[22:23], v[20:21], v[18:19]
	v_pk_mul_f32 v[20:21], v[52:53], s[12:13] op_sel_hi:[1,0]
	v_pk_fma_f32 v[108:109], v[50:51], s[20:21], v[108:109] op_sel:[0,0,1] op_sel_hi:[1,0,0] neg_lo:[0,0,1] neg_hi:[0,0,1]
	v_pk_fma_f32 v[18:19], v[62:63], s[10:11], v[20:21] op_sel:[0,0,1] op_sel_hi:[1,0,0]
	v_pk_fma_f32 v[20:21], v[62:63], s[10:11], v[20:21] op_sel:[0,0,1] op_sel_hi:[1,0,0] neg_lo:[0,0,1] neg_hi:[0,0,1]
	v_mov_b32_e32 v24, v18
	v_mov_b32_e32 v25, v21
	v_pk_add_f32 v[26:27], v[24:25], v[22:23]
	v_pk_mul_f32 v[24:25], v[54:55], s[22:23] op_sel_hi:[1,0]
	v_mov_b32_e32 v112, v110
	v_pk_fma_f32 v[22:23], v[64:65], s[20:21], v[24:25] op_sel:[0,0,1] op_sel_hi:[1,0,0]
	v_pk_fma_f32 v[24:25], v[64:65], s[20:21], v[24:25] op_sel:[0,0,1] op_sel_hi:[1,0,0] neg_lo:[0,0,1] neg_hi:[0,0,1]
	v_mov_b32_e32 v28, v22
	v_mov_b32_e32 v29, v25
	v_pk_add_f32 v[32:33], v[28:29], v[26:27]
	v_pk_mul_f32 v[28:29], v[68:69], s[28:29] op_sel_hi:[1,0]
	v_mov_b32_e32 v113, v109
	v_pk_fma_f32 v[26:27], v[66:67], s[26:27], v[28:29] op_sel:[0,0,1] op_sel_hi:[1,0,0]
	v_pk_fma_f32 v[28:29], v[66:67], s[26:27], v[28:29] op_sel:[0,0,1] op_sel_hi:[1,0,0] neg_lo:[0,0,1] neg_hi:[0,0,1]
	v_mov_b32_e32 v34, v26
	v_mov_b32_e32 v35, v29
	v_pk_add_f32 v[32:33], v[34:35], v[32:33]
	ds_write2_b64 v1, v[30:31], v[32:33] offset1:13
	v_pk_mul_f32 v[32:33], v[48:49], s[24:25] op_sel_hi:[1,0]
	v_pk_mul_f32 v[134:135], v[56:57], s[30:31] op_sel_hi:[1,0]
	v_pk_fma_f32 v[30:31], v[46:47], s[0:1], v[32:33] op_sel:[0,0,1] op_sel_hi:[1,0,0]
	v_pk_fma_f32 v[32:33], v[46:47], s[0:1], v[32:33] op_sel:[0,0,1] op_sel_hi:[1,0,0] neg_lo:[0,0,1] neg_hi:[0,0,1]
	v_mov_b32_e32 v34, v30
	v_mov_b32_e32 v35, v33
	v_pk_add_f32 v[38:39], v[34:35], v[4:5]
	v_pk_fma_f32 v[34:35], v[50:51], s[10:11], v[36:37] op_sel:[0,0,1] op_sel_hi:[1,0,0]
	v_pk_fma_f32 v[36:37], v[50:51], s[10:11], v[36:37] op_sel:[0,0,1] op_sel_hi:[1,0,0] neg_lo:[0,0,1] neg_hi:[0,0,1]
	v_mov_b32_e32 v40, v34
	v_mov_b32_e32 v41, v37
	v_pk_add_f32 v[42:43], v[40:41], v[38:39]
	v_pk_mul_f32 v[40:41], v[60:61], s[28:29] op_sel_hi:[1,0]
	v_pk_fma_f32 v[136:137], v[50:51], s[2:3], v[134:135] op_sel:[0,0,1] op_sel_hi:[1,0,0]
	v_pk_fma_f32 v[38:39], v[58:59], s[26:27], v[40:41] op_sel:[0,0,1] op_sel_hi:[1,0,0]
	v_pk_fma_f32 v[40:41], v[58:59], s[26:27], v[40:41] op_sel:[0,0,1] op_sel_hi:[1,0,0] neg_lo:[0,0,1] neg_hi:[0,0,1]
	v_mov_b32_e32 v44, v38
	v_mov_b32_e32 v45, v41
	v_pk_add_f32 v[70:71], v[44:45], v[42:43]
	v_pk_mul_f32 v[44:45], v[52:53], s[38:39] op_sel_hi:[1,0]
	v_pk_fma_f32 v[134:135], v[50:51], s[2:3], v[134:135] op_sel:[0,0,1] op_sel_hi:[1,0,0] neg_lo:[0,0,1] neg_hi:[0,0,1]
	v_pk_fma_f32 v[42:43], v[62:63], s[20:21], v[44:45] op_sel:[0,0,1] op_sel_hi:[1,0,0]
	v_pk_fma_f32 v[44:45], v[62:63], s[20:21], v[44:45] op_sel:[0,0,1] op_sel_hi:[1,0,0] neg_lo:[0,0,1] neg_hi:[0,0,1]
	v_mov_b32_e32 v72, v42
	v_mov_b32_e32 v73, v45
	v_pk_add_f32 v[70:71], v[72:73], v[70:71]
	v_pk_mul_f32 v[72:73], v[54:55], s[30:31] op_sel_hi:[1,0]
	v_mov_b32_e32 v138, v136
	v_pk_fma_f32 v[74:75], v[64:65], s[2:3], v[72:73] op_sel:[0,0,1] op_sel_hi:[1,0,0]
	v_pk_fma_f32 v[72:73], v[64:65], s[2:3], v[72:73] op_sel:[0,0,1] op_sel_hi:[1,0,0] neg_lo:[0,0,1] neg_hi:[0,0,1]
	v_mov_b32_e32 v76, v74
	v_mov_b32_e32 v77, v73
	v_pk_add_f32 v[70:71], v[76:77], v[70:71]
	v_pk_mul_f32 v[76:77], v[68:69], s[36:37] op_sel_hi:[1,0]
	v_mov_b32_e32 v139, v135
	;; [unrolled: 7-line block ×3, first 2 shown]
	v_pk_fma_f32 v[82:83], v[46:47], s[2:3], v[80:81] op_sel:[0,0,1] op_sel_hi:[1,0,0]
	v_pk_fma_f32 v[80:81], v[46:47], s[2:3], v[80:81] op_sel:[0,0,1] op_sel_hi:[1,0,0] neg_lo:[0,0,1] neg_hi:[0,0,1]
	v_mov_b32_e32 v84, v82
	v_mov_b32_e32 v85, v81
	v_pk_add_f32 v[84:85], v[84:85], v[4:5]
	v_mov_b32_e32 v109, v111
	v_pk_add_f32 v[84:85], v[90:91], v[84:85]
	v_pk_mul_f32 v[90:91], v[60:61], s[46:47] op_sel_hi:[1,0]
	v_mov_b32_e32 v81, v83
	v_pk_fma_f32 v[92:93], v[58:59], s[10:11], v[90:91] op_sel:[0,0,1] op_sel_hi:[1,0,0]
	v_pk_fma_f32 v[90:91], v[58:59], s[10:11], v[90:91] op_sel:[0,0,1] op_sel_hi:[1,0,0] neg_lo:[0,0,1] neg_hi:[0,0,1]
	v_mov_b32_e32 v94, v92
	v_mov_b32_e32 v95, v91
	v_pk_add_f32 v[84:85], v[94:95], v[84:85]
	v_pk_mul_f32 v[94:95], v[52:53], s[36:37] op_sel_hi:[1,0]
	v_mov_b32_e32 v33, v31
	v_pk_fma_f32 v[96:97], v[62:63], s[8:9], v[94:95] op_sel:[0,0,1] op_sel_hi:[1,0,0]
	v_pk_fma_f32 v[94:95], v[62:63], s[8:9], v[94:95] op_sel:[0,0,1] op_sel_hi:[1,0,0] neg_lo:[0,0,1] neg_hi:[0,0,1]
	v_mov_b32_e32 v98, v96
	;; [unrolled: 7-line block ×4, first 2 shown]
	v_mov_b32_e32 v107, v103
	v_pk_add_f32 v[84:85], v[106:107], v[84:85]
	ds_write2_b64 v1, v[70:71], v[84:85] offset0:26 offset1:39
	v_pk_mul_f32 v[70:71], v[48:49], s[12:13] op_sel_hi:[1,0]
	v_pk_add_f32 v[30:31], v[32:33], v[4:5]
	v_pk_fma_f32 v[84:85], v[46:47], s[10:11], v[70:71] op_sel:[0,0,1] op_sel_hi:[1,0,0]
	v_pk_fma_f32 v[70:71], v[46:47], s[10:11], v[70:71] op_sel:[0,0,1] op_sel_hi:[1,0,0] neg_lo:[0,0,1] neg_hi:[0,0,1]
	v_mov_b32_e32 v106, v84
	v_mov_b32_e32 v107, v71
	v_pk_add_f32 v[106:107], v[106:107], v[4:5]
	v_mov_b32_e32 v71, v85
	v_pk_add_f32 v[106:107], v[112:113], v[106:107]
	v_pk_mul_f32 v[112:113], v[60:61], s[36:37] op_sel_hi:[1,0]
	v_mov_b32_e32 v37, v35
	v_pk_fma_f32 v[114:115], v[58:59], s[8:9], v[112:113] op_sel:[0,0,1] op_sel_hi:[1,0,0]
	v_pk_fma_f32 v[112:113], v[58:59], s[8:9], v[112:113] op_sel:[0,0,1] op_sel_hi:[1,0,0] neg_lo:[0,0,1] neg_hi:[0,0,1]
	v_mov_b32_e32 v116, v114
	v_mov_b32_e32 v117, v113
	v_pk_add_f32 v[106:107], v[116:117], v[106:107]
	v_pk_mul_f32 v[116:117], v[52:53], s[34:35] op_sel_hi:[1,0]
	v_mov_b32_e32 v113, v115
	v_pk_fma_f32 v[118:119], v[62:63], s[2:3], v[116:117] op_sel:[0,0,1] op_sel_hi:[1,0,0]
	v_pk_fma_f32 v[116:117], v[62:63], s[2:3], v[116:117] op_sel:[0,0,1] op_sel_hi:[1,0,0] neg_lo:[0,0,1] neg_hi:[0,0,1]
	v_mov_b32_e32 v120, v118
	;; [unrolled: 7-line block ×4, first 2 shown]
	v_mov_b32_e32 v129, v125
	v_pk_add_f32 v[106:107], v[128:129], v[106:107]
	v_pk_mul_f32 v[128:129], v[48:49], s[22:23] op_sel_hi:[1,0]
	v_pk_mul_f32 v[48:49], v[48:49], s[28:29] op_sel_hi:[1,0]
	v_pk_fma_f32 v[130:131], v[46:47], s[20:21], v[128:129] op_sel:[0,0,1] op_sel_hi:[1,0,0]
	v_pk_fma_f32 v[128:129], v[46:47], s[20:21], v[128:129] op_sel:[0,0,1] op_sel_hi:[1,0,0] neg_lo:[0,0,1] neg_hi:[0,0,1]
	v_mov_b32_e32 v132, v130
	v_mov_b32_e32 v133, v129
	v_pk_add_f32 v[132:133], v[132:133], v[4:5]
	v_mov_b32_e32 v129, v131
	v_pk_add_f32 v[132:133], v[138:139], v[132:133]
	v_pk_mul_f32 v[138:139], v[60:61], s[24:25] op_sel_hi:[1,0]
	v_pk_mul_f32 v[60:61], v[60:61], s[22:23] op_sel_hi:[1,0]
	v_pk_fma_f32 v[140:141], v[58:59], s[0:1], v[138:139] op_sel:[0,0,1] op_sel_hi:[1,0,0]
	v_pk_fma_f32 v[138:139], v[58:59], s[0:1], v[138:139] op_sel:[0,0,1] op_sel_hi:[1,0,0] neg_lo:[0,0,1] neg_hi:[0,0,1]
	v_mov_b32_e32 v142, v140
	v_mov_b32_e32 v143, v139
	v_pk_add_f32 v[132:133], v[142:143], v[132:133]
	v_pk_mul_f32 v[142:143], v[52:53], s[44:45] op_sel_hi:[1,0]
	v_pk_mul_f32 v[52:53], v[52:53], s[40:41] op_sel_hi:[1,0]
	v_pk_fma_f32 v[144:145], v[62:63], s[26:27], v[142:143] op_sel:[0,0,1] op_sel_hi:[1,0,0]
	v_pk_fma_f32 v[142:143], v[62:63], s[26:27], v[142:143] op_sel:[0,0,1] op_sel_hi:[1,0,0] neg_lo:[0,0,1] neg_hi:[0,0,1]
	v_mov_b32_e32 v146, v144
	;; [unrolled: 7-line block ×3, first 2 shown]
	v_mov_b32_e32 v151, v147
	v_pk_add_f32 v[132:133], v[150:151], v[132:133]
	v_pk_mul_f32 v[150:151], v[68:69], s[12:13] op_sel_hi:[1,0]
	v_mov_b32_e32 v139, v141
	v_pk_fma_f32 v[152:153], v[66:67], s[10:11], v[150:151] op_sel:[0,0,1] op_sel_hi:[1,0,0]
	v_pk_fma_f32 v[150:151], v[66:67], s[10:11], v[150:151] op_sel:[0,0,1] op_sel_hi:[1,0,0] neg_lo:[0,0,1] neg_hi:[0,0,1]
	v_mov_b32_e32 v154, v152
	v_mov_b32_e32 v155, v151
	v_pk_add_f32 v[132:133], v[154:155], v[132:133]
	ds_write2_b64 v1, v[106:107], v[132:133] offset0:52 offset1:65
	v_pk_fma_f32 v[106:107], v[46:47], s[26:27], v[48:49] op_sel:[0,0,1] op_sel_hi:[1,0,0]
	v_pk_fma_f32 v[46:47], v[46:47], s[26:27], v[48:49] op_sel:[0,0,1] op_sel_hi:[1,0,0] neg_lo:[0,0,1] neg_hi:[0,0,1]
	v_pk_mul_f32 v[48:49], v[56:57], s[36:37] op_sel_hi:[1,0]
	v_mov_b32_e32 v143, v145
	v_pk_fma_f32 v[56:57], v[50:51], s[8:9], v[48:49] op_sel:[0,0,1] op_sel_hi:[1,0,0]
	v_pk_fma_f32 v[48:49], v[50:51], s[8:9], v[48:49] op_sel:[0,0,1] op_sel_hi:[1,0,0] neg_lo:[0,0,1] neg_hi:[0,0,1]
	v_mov_b32_e32 v50, v106
	v_mov_b32_e32 v51, v47
	v_pk_add_f32 v[50:51], v[50:51], v[4:5]
	v_mov_b32_e32 v132, v56
	v_mov_b32_e32 v133, v49
	v_pk_add_f32 v[50:51], v[132:133], v[50:51]
	v_pk_fma_f32 v[132:133], v[58:59], s[20:21], v[60:61] op_sel:[0,0,1] op_sel_hi:[1,0,0]
	v_pk_fma_f32 v[58:59], v[58:59], s[20:21], v[60:61] op_sel:[0,0,1] op_sel_hi:[1,0,0] neg_lo:[0,0,1] neg_hi:[0,0,1]
	v_mov_b32_e32 v60, v132
	v_mov_b32_e32 v61, v59
	v_pk_add_f32 v[50:51], v[60:61], v[50:51]
	v_pk_fma_f32 v[60:61], v[62:63], s[0:1], v[52:53] op_sel:[0,0,1] op_sel_hi:[1,0,0]
	v_pk_fma_f32 v[52:53], v[62:63], s[0:1], v[52:53] op_sel:[0,0,1] op_sel_hi:[1,0,0] neg_lo:[0,0,1] neg_hi:[0,0,1]
	v_mov_b32_e32 v62, v60
	v_mov_b32_e32 v63, v53
	;; [unrolled: 1-line block ×3, first 2 shown]
	v_pk_add_f32 v[50:51], v[62:63], v[50:51]
	v_pk_fma_f32 v[62:63], v[64:65], s[10:11], v[54:55] op_sel:[0,0,1] op_sel_hi:[1,0,0]
	v_pk_fma_f32 v[54:55], v[64:65], s[10:11], v[54:55] op_sel:[0,0,1] op_sel_hi:[1,0,0] neg_lo:[0,0,1] neg_hi:[0,0,1]
	v_mov_b32_e32 v49, v57
	v_pk_add_f32 v[46:47], v[46:47], v[4:5]
	v_mov_b32_e32 v64, v62
	v_mov_b32_e32 v65, v55
	v_pk_add_f32 v[46:47], v[48:49], v[46:47]
	v_mov_b32_e32 v59, v133
	v_pk_add_f32 v[50:51], v[64:65], v[50:51]
	v_pk_mul_f32 v[64:65], v[68:69], s[30:31] op_sel_hi:[1,0]
	v_pk_add_f32 v[46:47], v[58:59], v[46:47]
	v_mov_b32_e32 v53, v61
	v_pk_fma_f32 v[68:69], v[66:67], s[2:3], v[64:65] op_sel:[0,0,1] op_sel_hi:[1,0,0]
	v_pk_fma_f32 v[64:65], v[66:67], s[2:3], v[64:65] op_sel:[0,0,1] op_sel_hi:[1,0,0] neg_lo:[0,0,1] neg_hi:[0,0,1]
	v_pk_add_f32 v[46:47], v[52:53], v[46:47]
	v_mov_b32_e32 v55, v63
	v_mov_b32_e32 v66, v68
	;; [unrolled: 1-line block ×3, first 2 shown]
	v_pk_add_f32 v[46:47], v[54:55], v[46:47]
	v_mov_b32_e32 v65, v69
	v_pk_add_f32 v[50:51], v[66:67], v[50:51]
	v_pk_add_f32 v[46:47], v[64:65], v[46:47]
	ds_write2_b64 v1, v[50:51], v[46:47] offset0:78 offset1:91
	v_pk_add_f32 v[46:47], v[128:129], v[4:5]
	v_pk_add_f32 v[48:49], v[70:71], v[4:5]
	;; [unrolled: 1-line block ×7, first 2 shown]
	v_mov_b32_e32 v147, v149
	v_pk_add_f32 v[48:49], v[116:117], v[48:49]
	v_pk_add_f32 v[46:47], v[146:147], v[46:47]
	v_mov_b32_e32 v151, v153
	v_pk_add_f32 v[48:49], v[120:121], v[48:49]
	v_mov_b32_e32 v125, v127
	v_pk_add_f32 v[46:47], v[150:151], v[46:47]
	v_pk_add_f32 v[48:49], v[124:125], v[48:49]
	ds_write2_b64 v1, v[46:47], v[48:49] offset0:104 offset1:117
	v_pk_add_f32 v[46:47], v[80:81], v[4:5]
	v_pk_add_f32 v[4:5], v[8:9], v[4:5]
	v_mov_b32_e32 v13, v11
	v_pk_add_f32 v[46:47], v[86:87], v[46:47]
	v_mov_b32_e32 v91, v93
	;; [unrolled: 2-line block ×13, first 2 shown]
	v_pk_add_f32 v[46:47], v[102:103], v[46:47]
	v_pk_add_f32 v[30:31], v[76:77], v[30:31]
	v_pk_add_f32 v[4:5], v[28:29], v[4:5]
	ds_write2_b64 v1, v[46:47], v[30:31] offset0:130 offset1:143
	ds_write_b64 v1, v[4:5] offset:1248
	v_mul_u32_u24_e32 v1, 0x1556, v0
	v_lshrrev_b32_e32 v1, 16, v1
	v_mul_lo_u16_e32 v2, 12, v1
	v_sub_u16_e32 v8, v0, v2
	v_mad_u64_u32 v[4:5], s[4:5], s16, v8, 0
	s_mul_i32 s2, s16, s19
	v_mov_b32_e32 v2, v5
	v_mad_u64_u32 v[6:7], s[4:5], s17, v8, v[2:3]
	s_lshl_b64 s[2:3], s[2:3], 3
	s_mul_i32 s0, s25, s18
	v_mov_b32_e32 v5, v6
	v_mul_lo_u16_e32 v6, 0xaa, v8
	s_add_u32 s2, s14, s2
	v_mul_lo_u32 v2, s27, v1
	v_lshlrev_b32_e32 v6, 3, v6
	v_lshlrev_b32_e32 v1, 3, v1
	s_addc_u32 s3, s15, s3
	s_lshl_b64 s[0:1], s[0:1], 3
	v_add3_u32 v7, 0, v6, v1
	s_add_u32 s2, s2, s0
	s_waitcnt lgkmcnt(0)
	s_barrier
	s_addc_u32 s3, s3, s1
	s_lshl_b64 s[0:1], s[6:7], 3
	ds_read_b64 v[10:11], v7
	v_add3_u32 v1, 0, v1, v6
	s_add_u32 s0, s2, s0
	ds_read2_b64 v[6:9], v1 offset0:13 offset1:26
	s_addc_u32 s1, s3, s1
	v_lshl_add_u64 v[4:5], v[4:5], 3, s[0:1]
	s_mul_i32 s27, s27, 13
	v_lshl_add_u64 v[12:13], v[2:3], 3, v[4:5]
	v_add_u32_e32 v2, s27, v2
	s_waitcnt lgkmcnt(1)
	global_store_dwordx2 v[12:13], v[10:11], off
	v_lshl_add_u64 v[10:11], v[2:3], 3, v[4:5]
	s_waitcnt lgkmcnt(0)
	global_store_dwordx2 v[10:11], v[6:7], off
	ds_read2_b64 v[10:13], v1 offset0:39 offset1:52
	v_add_u32_e32 v2, s27, v2
	v_lshl_add_u64 v[6:7], v[2:3], 3, v[4:5]
	v_add_u32_e32 v2, s27, v2
	global_store_dwordx2 v[6:7], v[8:9], off
	v_lshl_add_u64 v[6:7], v[2:3], 3, v[4:5]
	s_waitcnt lgkmcnt(0)
	global_store_dwordx2 v[6:7], v[10:11], off
	ds_read2_b64 v[6:9], v1 offset0:65 offset1:78
	v_add_u32_e32 v2, s27, v2
	v_lshl_add_u64 v[10:11], v[2:3], 3, v[4:5]
	v_add_u32_e32 v2, s27, v2
	;; [unrolled: 8-line block ×5, first 2 shown]
	global_store_dwordx2 v[6:7], v[8:9], off
	v_lshl_add_u64 v[6:7], v[2:3], 3, v[4:5]
	v_add_u32_e32 v2, s27, v2
	s_waitcnt lgkmcnt(0)
	global_store_dwordx2 v[6:7], v[10:11], off
	v_lshl_add_u64 v[6:7], v[2:3], 3, v[4:5]
	global_store_dwordx2 v[6:7], v[12:13], off
	s_and_saveexec_b64 s[0:1], vcc
	s_cbranch_execz .LBB0_2
; %bb.1:
	ds_read_b64 v[0:1], v1 offset:1352
	v_add_u32_e32 v2, s27, v2
	v_lshl_add_u64 v[2:3], v[2:3], 3, v[4:5]
	s_waitcnt lgkmcnt(0)
	global_store_dwordx2 v[2:3], v[0:1], off
.LBB0_2:
	s_endpgm
	.section	.rodata,"a",@progbits
	.p2align	6, 0x0
	.amdhsa_kernel fft_rtc_back_len169_factors_13_13_wgs_156_tpt_13_sp_op_CI_CI_sbrc_erc_z_xy_aligned_dirReg
		.amdhsa_group_segment_fixed_size 0
		.amdhsa_private_segment_fixed_size 0
		.amdhsa_kernarg_size 104
		.amdhsa_user_sgpr_count 2
		.amdhsa_user_sgpr_dispatch_ptr 0
		.amdhsa_user_sgpr_queue_ptr 0
		.amdhsa_user_sgpr_kernarg_segment_ptr 1
		.amdhsa_user_sgpr_dispatch_id 0
		.amdhsa_user_sgpr_kernarg_preload_length 0
		.amdhsa_user_sgpr_kernarg_preload_offset 0
		.amdhsa_user_sgpr_private_segment_size 0
		.amdhsa_uses_dynamic_stack 0
		.amdhsa_enable_private_segment 0
		.amdhsa_system_sgpr_workgroup_id_x 1
		.amdhsa_system_sgpr_workgroup_id_y 0
		.amdhsa_system_sgpr_workgroup_id_z 0
		.amdhsa_system_sgpr_workgroup_info 0
		.amdhsa_system_vgpr_workitem_id 0
		.amdhsa_next_free_vgpr 157
		.amdhsa_next_free_sgpr 48
		.amdhsa_accum_offset 160
		.amdhsa_reserve_vcc 1
		.amdhsa_float_round_mode_32 0
		.amdhsa_float_round_mode_16_64 0
		.amdhsa_float_denorm_mode_32 3
		.amdhsa_float_denorm_mode_16_64 3
		.amdhsa_dx10_clamp 1
		.amdhsa_ieee_mode 1
		.amdhsa_fp16_overflow 0
		.amdhsa_tg_split 0
		.amdhsa_exception_fp_ieee_invalid_op 0
		.amdhsa_exception_fp_denorm_src 0
		.amdhsa_exception_fp_ieee_div_zero 0
		.amdhsa_exception_fp_ieee_overflow 0
		.amdhsa_exception_fp_ieee_underflow 0
		.amdhsa_exception_fp_ieee_inexact 0
		.amdhsa_exception_int_div_zero 0
	.end_amdhsa_kernel
	.text
.Lfunc_end0:
	.size	fft_rtc_back_len169_factors_13_13_wgs_156_tpt_13_sp_op_CI_CI_sbrc_erc_z_xy_aligned_dirReg, .Lfunc_end0-fft_rtc_back_len169_factors_13_13_wgs_156_tpt_13_sp_op_CI_CI_sbrc_erc_z_xy_aligned_dirReg
                                        ; -- End function
	.section	.AMDGPU.csdata,"",@progbits
; Kernel info:
; codeLenInByte = 7744
; NumSgprs: 54
; NumVgprs: 157
; NumAgprs: 0
; TotalNumVgprs: 157
; ScratchSize: 0
; MemoryBound: 0
; FloatMode: 240
; IeeeMode: 1
; LDSByteSize: 0 bytes/workgroup (compile time only)
; SGPRBlocks: 6
; VGPRBlocks: 19
; NumSGPRsForWavesPerEU: 54
; NumVGPRsForWavesPerEU: 157
; AccumOffset: 160
; Occupancy: 3
; WaveLimiterHint : 1
; COMPUTE_PGM_RSRC2:SCRATCH_EN: 0
; COMPUTE_PGM_RSRC2:USER_SGPR: 2
; COMPUTE_PGM_RSRC2:TRAP_HANDLER: 0
; COMPUTE_PGM_RSRC2:TGID_X_EN: 1
; COMPUTE_PGM_RSRC2:TGID_Y_EN: 0
; COMPUTE_PGM_RSRC2:TGID_Z_EN: 0
; COMPUTE_PGM_RSRC2:TIDIG_COMP_CNT: 0
; COMPUTE_PGM_RSRC3_GFX90A:ACCUM_OFFSET: 39
; COMPUTE_PGM_RSRC3_GFX90A:TG_SPLIT: 0
	.text
	.p2alignl 6, 3212836864
	.fill 256, 4, 3212836864
	.type	__hip_cuid_32539d0880eb3437,@object ; @__hip_cuid_32539d0880eb3437
	.section	.bss,"aw",@nobits
	.globl	__hip_cuid_32539d0880eb3437
__hip_cuid_32539d0880eb3437:
	.byte	0                               ; 0x0
	.size	__hip_cuid_32539d0880eb3437, 1

	.ident	"AMD clang version 19.0.0git (https://github.com/RadeonOpenCompute/llvm-project roc-6.4.0 25133 c7fe45cf4b819c5991fe208aaa96edf142730f1d)"
	.section	".note.GNU-stack","",@progbits
	.addrsig
	.addrsig_sym __hip_cuid_32539d0880eb3437
	.amdgpu_metadata
---
amdhsa.kernels:
  - .agpr_count:     0
    .args:
      - .actual_access:  read_only
        .address_space:  global
        .offset:         0
        .size:           8
        .value_kind:     global_buffer
      - .offset:         8
        .size:           8
        .value_kind:     by_value
      - .actual_access:  read_only
        .address_space:  global
        .offset:         16
        .size:           8
        .value_kind:     global_buffer
      - .actual_access:  read_only
        .address_space:  global
        .offset:         24
        .size:           8
        .value_kind:     global_buffer
      - .actual_access:  read_only
        .address_space:  global
        .offset:         32
        .size:           8
        .value_kind:     global_buffer
      - .offset:         40
        .size:           8
        .value_kind:     by_value
      - .actual_access:  read_only
        .address_space:  global
        .offset:         48
        .size:           8
        .value_kind:     global_buffer
      - .actual_access:  read_only
        .address_space:  global
        .offset:         56
        .size:           8
        .value_kind:     global_buffer
      - .offset:         64
        .size:           4
        .value_kind:     by_value
      - .actual_access:  read_only
        .address_space:  global
        .offset:         72
        .size:           8
        .value_kind:     global_buffer
      - .actual_access:  read_only
        .address_space:  global
        .offset:         80
        .size:           8
        .value_kind:     global_buffer
      - .actual_access:  read_only
        .address_space:  global
        .offset:         88
        .size:           8
        .value_kind:     global_buffer
      - .actual_access:  write_only
        .address_space:  global
        .offset:         96
        .size:           8
        .value_kind:     global_buffer
    .group_segment_fixed_size: 0
    .kernarg_segment_align: 8
    .kernarg_segment_size: 104
    .language:       OpenCL C
    .language_version:
      - 2
      - 0
    .max_flat_workgroup_size: 156
    .name:           fft_rtc_back_len169_factors_13_13_wgs_156_tpt_13_sp_op_CI_CI_sbrc_erc_z_xy_aligned_dirReg
    .private_segment_fixed_size: 0
    .sgpr_count:     54
    .sgpr_spill_count: 0
    .symbol:         fft_rtc_back_len169_factors_13_13_wgs_156_tpt_13_sp_op_CI_CI_sbrc_erc_z_xy_aligned_dirReg.kd
    .uniform_work_group_size: 1
    .uses_dynamic_stack: false
    .vgpr_count:     157
    .vgpr_spill_count: 0
    .wavefront_size: 64
amdhsa.target:   amdgcn-amd-amdhsa--gfx950
amdhsa.version:
  - 1
  - 2
...

	.end_amdgpu_metadata
